;; amdgpu-corpus repo=LLNL/RAJAPerf kind=compiled arch=gfx90a opt=O3
	.text
	.amdgcn_target "amdgcn-amd-amdhsa--gfx90a"
	.amdhsa_code_object_version 6
	.section	.text._ZN8rajaperf5basic10initview1dILm256EEEvPddl,"axG",@progbits,_ZN8rajaperf5basic10initview1dILm256EEEvPddl,comdat
	.protected	_ZN8rajaperf5basic10initview1dILm256EEEvPddl ; -- Begin function _ZN8rajaperf5basic10initview1dILm256EEEvPddl
	.globl	_ZN8rajaperf5basic10initview1dILm256EEEvPddl
	.p2align	8
	.type	_ZN8rajaperf5basic10initview1dILm256EEEvPddl,@function
_ZN8rajaperf5basic10initview1dILm256EEEvPddl: ; @_ZN8rajaperf5basic10initview1dILm256EEEvPddl
; %bb.0:
	s_load_dwordx2 s[0:1], s[4:5], 0x10
	s_mov_b32 s7, 0
	s_lshl_b64 s[2:3], s[6:7], 8
	v_or_b32_e32 v0, s2, v0
	v_mov_b32_e32 v1, s3
	s_waitcnt lgkmcnt(0)
	v_cmp_gt_i64_e32 vcc, s[0:1], v[0:1]
	s_and_saveexec_b64 s[0:1], vcc
	s_cbranch_execz .LBB0_2
; %bb.1:
	s_load_dwordx4 s[0:3], s[4:5], 0x0
	v_lshlrev_b64 v[2:3], 3, v[0:1]
	s_waitcnt lgkmcnt(0)
	v_mov_b32_e32 v4, s1
	v_add_co_u32_e32 v2, vcc, s0, v2
	v_addc_co_u32_e32 v3, vcc, v4, v3, vcc
	v_add_co_u32_e32 v4, vcc, 1, v0
	v_addc_co_u32_e32 v0, vcc, 0, v1, vcc
	v_cvt_f64_u32_e32 v[0:1], v0
	v_ldexp_f64 v[0:1], v[0:1], 32
	v_cvt_f64_u32_e32 v[4:5], v4
	v_add_f64 v[0:1], v[0:1], v[4:5]
	v_mul_f64 v[0:1], v[0:1], s[2:3]
	global_store_dwordx2 v[2:3], v[0:1], off
.LBB0_2:
	s_endpgm
	.section	.rodata,"a",@progbits
	.p2align	6, 0x0
	.amdhsa_kernel _ZN8rajaperf5basic10initview1dILm256EEEvPddl
		.amdhsa_group_segment_fixed_size 0
		.amdhsa_private_segment_fixed_size 0
		.amdhsa_kernarg_size 24
		.amdhsa_user_sgpr_count 6
		.amdhsa_user_sgpr_private_segment_buffer 1
		.amdhsa_user_sgpr_dispatch_ptr 0
		.amdhsa_user_sgpr_queue_ptr 0
		.amdhsa_user_sgpr_kernarg_segment_ptr 1
		.amdhsa_user_sgpr_dispatch_id 0
		.amdhsa_user_sgpr_flat_scratch_init 0
		.amdhsa_user_sgpr_kernarg_preload_length 0
		.amdhsa_user_sgpr_kernarg_preload_offset 0
		.amdhsa_user_sgpr_private_segment_size 0
		.amdhsa_uses_dynamic_stack 0
		.amdhsa_system_sgpr_private_segment_wavefront_offset 0
		.amdhsa_system_sgpr_workgroup_id_x 1
		.amdhsa_system_sgpr_workgroup_id_y 0
		.amdhsa_system_sgpr_workgroup_id_z 0
		.amdhsa_system_sgpr_workgroup_info 0
		.amdhsa_system_vgpr_workitem_id 0
		.amdhsa_next_free_vgpr 6
		.amdhsa_next_free_sgpr 8
		.amdhsa_accum_offset 8
		.amdhsa_reserve_vcc 1
		.amdhsa_reserve_flat_scratch 0
		.amdhsa_float_round_mode_32 0
		.amdhsa_float_round_mode_16_64 0
		.amdhsa_float_denorm_mode_32 3
		.amdhsa_float_denorm_mode_16_64 3
		.amdhsa_dx10_clamp 1
		.amdhsa_ieee_mode 1
		.amdhsa_fp16_overflow 0
		.amdhsa_tg_split 0
		.amdhsa_exception_fp_ieee_invalid_op 0
		.amdhsa_exception_fp_denorm_src 0
		.amdhsa_exception_fp_ieee_div_zero 0
		.amdhsa_exception_fp_ieee_overflow 0
		.amdhsa_exception_fp_ieee_underflow 0
		.amdhsa_exception_fp_ieee_inexact 0
		.amdhsa_exception_int_div_zero 0
	.end_amdhsa_kernel
	.section	.text._ZN8rajaperf5basic10initview1dILm256EEEvPddl,"axG",@progbits,_ZN8rajaperf5basic10initview1dILm256EEEvPddl,comdat
.Lfunc_end0:
	.size	_ZN8rajaperf5basic10initview1dILm256EEEvPddl, .Lfunc_end0-_ZN8rajaperf5basic10initview1dILm256EEEvPddl
                                        ; -- End function
	.section	.AMDGPU.csdata,"",@progbits
; Kernel info:
; codeLenInByte = 124
; NumSgprs: 12
; NumVgprs: 6
; NumAgprs: 0
; TotalNumVgprs: 6
; ScratchSize: 0
; MemoryBound: 0
; FloatMode: 240
; IeeeMode: 1
; LDSByteSize: 0 bytes/workgroup (compile time only)
; SGPRBlocks: 1
; VGPRBlocks: 0
; NumSGPRsForWavesPerEU: 12
; NumVGPRsForWavesPerEU: 6
; AccumOffset: 8
; Occupancy: 8
; WaveLimiterHint : 0
; COMPUTE_PGM_RSRC2:SCRATCH_EN: 0
; COMPUTE_PGM_RSRC2:USER_SGPR: 6
; COMPUTE_PGM_RSRC2:TRAP_HANDLER: 0
; COMPUTE_PGM_RSRC2:TGID_X_EN: 1
; COMPUTE_PGM_RSRC2:TGID_Y_EN: 0
; COMPUTE_PGM_RSRC2:TGID_Z_EN: 0
; COMPUTE_PGM_RSRC2:TIDIG_COMP_CNT: 0
; COMPUTE_PGM_RSRC3_GFX90A:ACCUM_OFFSET: 1
; COMPUTE_PGM_RSRC3_GFX90A:TG_SPLIT: 0
	.section	.text._ZN8rajaperf17lambda_hip_forallILm256EZNS_5basic11INIT_VIEW1D17runHipVariantImplILm256EEEvNS_9VariantIDEEUllE_EEvllT0_,"axG",@progbits,_ZN8rajaperf17lambda_hip_forallILm256EZNS_5basic11INIT_VIEW1D17runHipVariantImplILm256EEEvNS_9VariantIDEEUllE_EEvllT0_,comdat
	.protected	_ZN8rajaperf17lambda_hip_forallILm256EZNS_5basic11INIT_VIEW1D17runHipVariantImplILm256EEEvNS_9VariantIDEEUllE_EEvllT0_ ; -- Begin function _ZN8rajaperf17lambda_hip_forallILm256EZNS_5basic11INIT_VIEW1D17runHipVariantImplILm256EEEvNS_9VariantIDEEUllE_EEvllT0_
	.globl	_ZN8rajaperf17lambda_hip_forallILm256EZNS_5basic11INIT_VIEW1D17runHipVariantImplILm256EEEvNS_9VariantIDEEUllE_EEvllT0_
	.p2align	8
	.type	_ZN8rajaperf17lambda_hip_forallILm256EZNS_5basic11INIT_VIEW1D17runHipVariantImplILm256EEEvNS_9VariantIDEEUllE_EEvllT0_,@function
_ZN8rajaperf17lambda_hip_forallILm256EZNS_5basic11INIT_VIEW1D17runHipVariantImplILm256EEEvNS_9VariantIDEEUllE_EEvllT0_: ; @_ZN8rajaperf17lambda_hip_forallILm256EZNS_5basic11INIT_VIEW1D17runHipVariantImplILm256EEEvNS_9VariantIDEEUllE_EEvllT0_
; %bb.0:
	s_load_dwordx4 s[0:3], s[4:5], 0x0
	s_mov_b32 s7, 0
	s_lshl_b64 s[6:7], s[6:7], 8
	s_waitcnt lgkmcnt(0)
	s_add_u32 s0, s6, s0
	s_addc_u32 s1, s7, s1
	v_mov_b32_e32 v1, s1
	v_add_co_u32_e32 v0, vcc, s0, v0
	v_addc_co_u32_e32 v1, vcc, 0, v1, vcc
	v_cmp_gt_i64_e32 vcc, s[2:3], v[0:1]
	s_and_saveexec_b64 s[0:1], vcc
	s_cbranch_execz .LBB1_2
; %bb.1:
	s_load_dwordx4 s[0:3], s[4:5], 0x10
	v_lshlrev_b64 v[2:3], 3, v[0:1]
	s_waitcnt lgkmcnt(0)
	v_mov_b32_e32 v4, s1
	v_add_co_u32_e32 v2, vcc, s0, v2
	v_addc_co_u32_e32 v3, vcc, v4, v3, vcc
	v_add_co_u32_e32 v4, vcc, 1, v0
	v_addc_co_u32_e32 v0, vcc, 0, v1, vcc
	v_cvt_f64_i32_e32 v[0:1], v0
	v_ldexp_f64 v[0:1], v[0:1], 32
	v_cvt_f64_u32_e32 v[4:5], v4
	v_add_f64 v[0:1], v[0:1], v[4:5]
	v_mul_f64 v[0:1], s[2:3], v[0:1]
	global_store_dwordx2 v[2:3], v[0:1], off
.LBB1_2:
	s_endpgm
	.section	.rodata,"a",@progbits
	.p2align	6, 0x0
	.amdhsa_kernel _ZN8rajaperf17lambda_hip_forallILm256EZNS_5basic11INIT_VIEW1D17runHipVariantImplILm256EEEvNS_9VariantIDEEUllE_EEvllT0_
		.amdhsa_group_segment_fixed_size 0
		.amdhsa_private_segment_fixed_size 0
		.amdhsa_kernarg_size 32
		.amdhsa_user_sgpr_count 6
		.amdhsa_user_sgpr_private_segment_buffer 1
		.amdhsa_user_sgpr_dispatch_ptr 0
		.amdhsa_user_sgpr_queue_ptr 0
		.amdhsa_user_sgpr_kernarg_segment_ptr 1
		.amdhsa_user_sgpr_dispatch_id 0
		.amdhsa_user_sgpr_flat_scratch_init 0
		.amdhsa_user_sgpr_kernarg_preload_length 0
		.amdhsa_user_sgpr_kernarg_preload_offset 0
		.amdhsa_user_sgpr_private_segment_size 0
		.amdhsa_uses_dynamic_stack 0
		.amdhsa_system_sgpr_private_segment_wavefront_offset 0
		.amdhsa_system_sgpr_workgroup_id_x 1
		.amdhsa_system_sgpr_workgroup_id_y 0
		.amdhsa_system_sgpr_workgroup_id_z 0
		.amdhsa_system_sgpr_workgroup_info 0
		.amdhsa_system_vgpr_workitem_id 0
		.amdhsa_next_free_vgpr 6
		.amdhsa_next_free_sgpr 8
		.amdhsa_accum_offset 8
		.amdhsa_reserve_vcc 1
		.amdhsa_reserve_flat_scratch 0
		.amdhsa_float_round_mode_32 0
		.amdhsa_float_round_mode_16_64 0
		.amdhsa_float_denorm_mode_32 3
		.amdhsa_float_denorm_mode_16_64 3
		.amdhsa_dx10_clamp 1
		.amdhsa_ieee_mode 1
		.amdhsa_fp16_overflow 0
		.amdhsa_tg_split 0
		.amdhsa_exception_fp_ieee_invalid_op 0
		.amdhsa_exception_fp_denorm_src 0
		.amdhsa_exception_fp_ieee_div_zero 0
		.amdhsa_exception_fp_ieee_overflow 0
		.amdhsa_exception_fp_ieee_underflow 0
		.amdhsa_exception_fp_ieee_inexact 0
		.amdhsa_exception_int_div_zero 0
	.end_amdhsa_kernel
	.section	.text._ZN8rajaperf17lambda_hip_forallILm256EZNS_5basic11INIT_VIEW1D17runHipVariantImplILm256EEEvNS_9VariantIDEEUllE_EEvllT0_,"axG",@progbits,_ZN8rajaperf17lambda_hip_forallILm256EZNS_5basic11INIT_VIEW1D17runHipVariantImplILm256EEEvNS_9VariantIDEEUllE_EEvllT0_,comdat
.Lfunc_end1:
	.size	_ZN8rajaperf17lambda_hip_forallILm256EZNS_5basic11INIT_VIEW1D17runHipVariantImplILm256EEEvNS_9VariantIDEEUllE_EEvllT0_, .Lfunc_end1-_ZN8rajaperf17lambda_hip_forallILm256EZNS_5basic11INIT_VIEW1D17runHipVariantImplILm256EEEvNS_9VariantIDEEUllE_EEvllT0_
                                        ; -- End function
	.section	.AMDGPU.csdata,"",@progbits
; Kernel info:
; codeLenInByte = 136
; NumSgprs: 12
; NumVgprs: 6
; NumAgprs: 0
; TotalNumVgprs: 6
; ScratchSize: 0
; MemoryBound: 0
; FloatMode: 240
; IeeeMode: 1
; LDSByteSize: 0 bytes/workgroup (compile time only)
; SGPRBlocks: 1
; VGPRBlocks: 0
; NumSGPRsForWavesPerEU: 12
; NumVGPRsForWavesPerEU: 6
; AccumOffset: 8
; Occupancy: 8
; WaveLimiterHint : 0
; COMPUTE_PGM_RSRC2:SCRATCH_EN: 0
; COMPUTE_PGM_RSRC2:USER_SGPR: 6
; COMPUTE_PGM_RSRC2:TRAP_HANDLER: 0
; COMPUTE_PGM_RSRC2:TGID_X_EN: 1
; COMPUTE_PGM_RSRC2:TGID_Y_EN: 0
; COMPUTE_PGM_RSRC2:TGID_Z_EN: 0
; COMPUTE_PGM_RSRC2:TIDIG_COMP_CNT: 0
; COMPUTE_PGM_RSRC3_GFX90A:ACCUM_OFFSET: 1
; COMPUTE_PGM_RSRC3_GFX90A:TG_SPLIT: 0
	.section	.text._ZN4RAJA6policy3hip4impl18forallp_hip_kernelINS1_8hip_execINS_17iteration_mapping6DirectENS_3hip11IndexGlobalILNS_9named_dimE0ELi256ELi0EEENS7_40AvoidDeviceMaxThreadOccupancyConcretizerINS7_34FractionOffsetOccupancyConcretizerINS_8FractionImLm1ELm1EEELln1EEEEELb1EEENS_9Iterators16numeric_iteratorIllPlEEZN8rajaperf5basic11INIT_VIEW1D17runHipVariantImplILm256EEEvNSM_9VariantIDEEUllE0_lNS_4expt15ForallParamPackIJEEES6_SA_TnNSt9enable_ifIXaasr3std10is_base_ofINS5_10DirectBaseET4_EE5valuegtsrT5_10block_sizeLi0EEmE4typeELm256EEEvT1_T0_T2_T3_,"axG",@progbits,_ZN4RAJA6policy3hip4impl18forallp_hip_kernelINS1_8hip_execINS_17iteration_mapping6DirectENS_3hip11IndexGlobalILNS_9named_dimE0ELi256ELi0EEENS7_40AvoidDeviceMaxThreadOccupancyConcretizerINS7_34FractionOffsetOccupancyConcretizerINS_8FractionImLm1ELm1EEELln1EEEEELb1EEENS_9Iterators16numeric_iteratorIllPlEEZN8rajaperf5basic11INIT_VIEW1D17runHipVariantImplILm256EEEvNSM_9VariantIDEEUllE0_lNS_4expt15ForallParamPackIJEEES6_SA_TnNSt9enable_ifIXaasr3std10is_base_ofINS5_10DirectBaseET4_EE5valuegtsrT5_10block_sizeLi0EEmE4typeELm256EEEvT1_T0_T2_T3_,comdat
	.protected	_ZN4RAJA6policy3hip4impl18forallp_hip_kernelINS1_8hip_execINS_17iteration_mapping6DirectENS_3hip11IndexGlobalILNS_9named_dimE0ELi256ELi0EEENS7_40AvoidDeviceMaxThreadOccupancyConcretizerINS7_34FractionOffsetOccupancyConcretizerINS_8FractionImLm1ELm1EEELln1EEEEELb1EEENS_9Iterators16numeric_iteratorIllPlEEZN8rajaperf5basic11INIT_VIEW1D17runHipVariantImplILm256EEEvNSM_9VariantIDEEUllE0_lNS_4expt15ForallParamPackIJEEES6_SA_TnNSt9enable_ifIXaasr3std10is_base_ofINS5_10DirectBaseET4_EE5valuegtsrT5_10block_sizeLi0EEmE4typeELm256EEEvT1_T0_T2_T3_ ; -- Begin function _ZN4RAJA6policy3hip4impl18forallp_hip_kernelINS1_8hip_execINS_17iteration_mapping6DirectENS_3hip11IndexGlobalILNS_9named_dimE0ELi256ELi0EEENS7_40AvoidDeviceMaxThreadOccupancyConcretizerINS7_34FractionOffsetOccupancyConcretizerINS_8FractionImLm1ELm1EEELln1EEEEELb1EEENS_9Iterators16numeric_iteratorIllPlEEZN8rajaperf5basic11INIT_VIEW1D17runHipVariantImplILm256EEEvNSM_9VariantIDEEUllE0_lNS_4expt15ForallParamPackIJEEES6_SA_TnNSt9enable_ifIXaasr3std10is_base_ofINS5_10DirectBaseET4_EE5valuegtsrT5_10block_sizeLi0EEmE4typeELm256EEEvT1_T0_T2_T3_
	.globl	_ZN4RAJA6policy3hip4impl18forallp_hip_kernelINS1_8hip_execINS_17iteration_mapping6DirectENS_3hip11IndexGlobalILNS_9named_dimE0ELi256ELi0EEENS7_40AvoidDeviceMaxThreadOccupancyConcretizerINS7_34FractionOffsetOccupancyConcretizerINS_8FractionImLm1ELm1EEELln1EEEEELb1EEENS_9Iterators16numeric_iteratorIllPlEEZN8rajaperf5basic11INIT_VIEW1D17runHipVariantImplILm256EEEvNSM_9VariantIDEEUllE0_lNS_4expt15ForallParamPackIJEEES6_SA_TnNSt9enable_ifIXaasr3std10is_base_ofINS5_10DirectBaseET4_EE5valuegtsrT5_10block_sizeLi0EEmE4typeELm256EEEvT1_T0_T2_T3_
	.p2align	8
	.type	_ZN4RAJA6policy3hip4impl18forallp_hip_kernelINS1_8hip_execINS_17iteration_mapping6DirectENS_3hip11IndexGlobalILNS_9named_dimE0ELi256ELi0EEENS7_40AvoidDeviceMaxThreadOccupancyConcretizerINS7_34FractionOffsetOccupancyConcretizerINS_8FractionImLm1ELm1EEELln1EEEEELb1EEENS_9Iterators16numeric_iteratorIllPlEEZN8rajaperf5basic11INIT_VIEW1D17runHipVariantImplILm256EEEvNSM_9VariantIDEEUllE0_lNS_4expt15ForallParamPackIJEEES6_SA_TnNSt9enable_ifIXaasr3std10is_base_ofINS5_10DirectBaseET4_EE5valuegtsrT5_10block_sizeLi0EEmE4typeELm256EEEvT1_T0_T2_T3_,@function
_ZN4RAJA6policy3hip4impl18forallp_hip_kernelINS1_8hip_execINS_17iteration_mapping6DirectENS_3hip11IndexGlobalILNS_9named_dimE0ELi256ELi0EEENS7_40AvoidDeviceMaxThreadOccupancyConcretizerINS7_34FractionOffsetOccupancyConcretizerINS_8FractionImLm1ELm1EEELln1EEEEELb1EEENS_9Iterators16numeric_iteratorIllPlEEZN8rajaperf5basic11INIT_VIEW1D17runHipVariantImplILm256EEEvNSM_9VariantIDEEUllE0_lNS_4expt15ForallParamPackIJEEES6_SA_TnNSt9enable_ifIXaasr3std10is_base_ofINS5_10DirectBaseET4_EE5valuegtsrT5_10block_sizeLi0EEmE4typeELm256EEEvT1_T0_T2_T3_: ; @_ZN4RAJA6policy3hip4impl18forallp_hip_kernelINS1_8hip_execINS_17iteration_mapping6DirectENS_3hip11IndexGlobalILNS_9named_dimE0ELi256ELi0EEENS7_40AvoidDeviceMaxThreadOccupancyConcretizerINS7_34FractionOffsetOccupancyConcretizerINS_8FractionImLm1ELm1EEELln1EEEEELb1EEENS_9Iterators16numeric_iteratorIllPlEEZN8rajaperf5basic11INIT_VIEW1D17runHipVariantImplILm256EEEvNSM_9VariantIDEEUllE0_lNS_4expt15ForallParamPackIJEEES6_SA_TnNSt9enable_ifIXaasr3std10is_base_ofINS5_10DirectBaseET4_EE5valuegtsrT5_10block_sizeLi0EEmE4typeELm256EEEvT1_T0_T2_T3_
; %bb.0:
	s_load_dwordx4 s[0:3], s[4:5], 0x30
	s_mov_b32 s7, 0
	s_lshl_b64 s[6:7], s[6:7], 8
	v_or_b32_e32 v0, s6, v0
	v_mov_b32_e32 v1, s7
	s_waitcnt lgkmcnt(0)
	v_cmp_gt_i64_e32 vcc, s[2:3], v[0:1]
	s_and_saveexec_b64 s[2:3], vcc
	s_cbranch_execz .LBB2_2
; %bb.1:
	s_load_dwordx2 s[2:3], s[4:5], 0x0
	v_mov_b32_e32 v2, s1
	v_add_co_u32_e32 v0, vcc, s0, v0
	s_load_dwordx2 s[0:1], s[4:5], 0x28
	v_addc_co_u32_e32 v1, vcc, v1, v2, vcc
	v_lshlrev_b64 v[2:3], 3, v[0:1]
	s_waitcnt lgkmcnt(0)
	v_mov_b32_e32 v4, s3
	v_add_co_u32_e32 v2, vcc, s2, v2
	v_addc_co_u32_e32 v3, vcc, v4, v3, vcc
	v_add_co_u32_e32 v4, vcc, 1, v0
	v_addc_co_u32_e32 v0, vcc, 0, v1, vcc
	v_cvt_f64_i32_e32 v[0:1], v0
	v_ldexp_f64 v[0:1], v[0:1], 32
	v_cvt_f64_u32_e32 v[4:5], v4
	v_add_f64 v[0:1], v[0:1], v[4:5]
	v_mul_f64 v[0:1], s[0:1], v[0:1]
	global_store_dwordx2 v[2:3], v[0:1], off
.LBB2_2:
	s_endpgm
	.section	.rodata,"a",@progbits
	.p2align	6, 0x0
	.amdhsa_kernel _ZN4RAJA6policy3hip4impl18forallp_hip_kernelINS1_8hip_execINS_17iteration_mapping6DirectENS_3hip11IndexGlobalILNS_9named_dimE0ELi256ELi0EEENS7_40AvoidDeviceMaxThreadOccupancyConcretizerINS7_34FractionOffsetOccupancyConcretizerINS_8FractionImLm1ELm1EEELln1EEEEELb1EEENS_9Iterators16numeric_iteratorIllPlEEZN8rajaperf5basic11INIT_VIEW1D17runHipVariantImplILm256EEEvNSM_9VariantIDEEUllE0_lNS_4expt15ForallParamPackIJEEES6_SA_TnNSt9enable_ifIXaasr3std10is_base_ofINS5_10DirectBaseET4_EE5valuegtsrT5_10block_sizeLi0EEmE4typeELm256EEEvT1_T0_T2_T3_
		.amdhsa_group_segment_fixed_size 0
		.amdhsa_private_segment_fixed_size 0
		.amdhsa_kernarg_size 68
		.amdhsa_user_sgpr_count 6
		.amdhsa_user_sgpr_private_segment_buffer 1
		.amdhsa_user_sgpr_dispatch_ptr 0
		.amdhsa_user_sgpr_queue_ptr 0
		.amdhsa_user_sgpr_kernarg_segment_ptr 1
		.amdhsa_user_sgpr_dispatch_id 0
		.amdhsa_user_sgpr_flat_scratch_init 0
		.amdhsa_user_sgpr_kernarg_preload_length 0
		.amdhsa_user_sgpr_kernarg_preload_offset 0
		.amdhsa_user_sgpr_private_segment_size 0
		.amdhsa_uses_dynamic_stack 0
		.amdhsa_system_sgpr_private_segment_wavefront_offset 0
		.amdhsa_system_sgpr_workgroup_id_x 1
		.amdhsa_system_sgpr_workgroup_id_y 0
		.amdhsa_system_sgpr_workgroup_id_z 0
		.amdhsa_system_sgpr_workgroup_info 0
		.amdhsa_system_vgpr_workitem_id 0
		.amdhsa_next_free_vgpr 6
		.amdhsa_next_free_sgpr 8
		.amdhsa_accum_offset 8
		.amdhsa_reserve_vcc 1
		.amdhsa_reserve_flat_scratch 0
		.amdhsa_float_round_mode_32 0
		.amdhsa_float_round_mode_16_64 0
		.amdhsa_float_denorm_mode_32 3
		.amdhsa_float_denorm_mode_16_64 3
		.amdhsa_dx10_clamp 1
		.amdhsa_ieee_mode 1
		.amdhsa_fp16_overflow 0
		.amdhsa_tg_split 0
		.amdhsa_exception_fp_ieee_invalid_op 0
		.amdhsa_exception_fp_denorm_src 0
		.amdhsa_exception_fp_ieee_div_zero 0
		.amdhsa_exception_fp_ieee_overflow 0
		.amdhsa_exception_fp_ieee_underflow 0
		.amdhsa_exception_fp_ieee_inexact 0
		.amdhsa_exception_int_div_zero 0
	.end_amdhsa_kernel
	.section	.text._ZN4RAJA6policy3hip4impl18forallp_hip_kernelINS1_8hip_execINS_17iteration_mapping6DirectENS_3hip11IndexGlobalILNS_9named_dimE0ELi256ELi0EEENS7_40AvoidDeviceMaxThreadOccupancyConcretizerINS7_34FractionOffsetOccupancyConcretizerINS_8FractionImLm1ELm1EEELln1EEEEELb1EEENS_9Iterators16numeric_iteratorIllPlEEZN8rajaperf5basic11INIT_VIEW1D17runHipVariantImplILm256EEEvNSM_9VariantIDEEUllE0_lNS_4expt15ForallParamPackIJEEES6_SA_TnNSt9enable_ifIXaasr3std10is_base_ofINS5_10DirectBaseET4_EE5valuegtsrT5_10block_sizeLi0EEmE4typeELm256EEEvT1_T0_T2_T3_,"axG",@progbits,_ZN4RAJA6policy3hip4impl18forallp_hip_kernelINS1_8hip_execINS_17iteration_mapping6DirectENS_3hip11IndexGlobalILNS_9named_dimE0ELi256ELi0EEENS7_40AvoidDeviceMaxThreadOccupancyConcretizerINS7_34FractionOffsetOccupancyConcretizerINS_8FractionImLm1ELm1EEELln1EEEEELb1EEENS_9Iterators16numeric_iteratorIllPlEEZN8rajaperf5basic11INIT_VIEW1D17runHipVariantImplILm256EEEvNSM_9VariantIDEEUllE0_lNS_4expt15ForallParamPackIJEEES6_SA_TnNSt9enable_ifIXaasr3std10is_base_ofINS5_10DirectBaseET4_EE5valuegtsrT5_10block_sizeLi0EEmE4typeELm256EEEvT1_T0_T2_T3_,comdat
.Lfunc_end2:
	.size	_ZN4RAJA6policy3hip4impl18forallp_hip_kernelINS1_8hip_execINS_17iteration_mapping6DirectENS_3hip11IndexGlobalILNS_9named_dimE0ELi256ELi0EEENS7_40AvoidDeviceMaxThreadOccupancyConcretizerINS7_34FractionOffsetOccupancyConcretizerINS_8FractionImLm1ELm1EEELln1EEEEELb1EEENS_9Iterators16numeric_iteratorIllPlEEZN8rajaperf5basic11INIT_VIEW1D17runHipVariantImplILm256EEEvNSM_9VariantIDEEUllE0_lNS_4expt15ForallParamPackIJEEES6_SA_TnNSt9enable_ifIXaasr3std10is_base_ofINS5_10DirectBaseET4_EE5valuegtsrT5_10block_sizeLi0EEmE4typeELm256EEEvT1_T0_T2_T3_, .Lfunc_end2-_ZN4RAJA6policy3hip4impl18forallp_hip_kernelINS1_8hip_execINS_17iteration_mapping6DirectENS_3hip11IndexGlobalILNS_9named_dimE0ELi256ELi0EEENS7_40AvoidDeviceMaxThreadOccupancyConcretizerINS7_34FractionOffsetOccupancyConcretizerINS_8FractionImLm1ELm1EEELln1EEEEELb1EEENS_9Iterators16numeric_iteratorIllPlEEZN8rajaperf5basic11INIT_VIEW1D17runHipVariantImplILm256EEEvNSM_9VariantIDEEUllE0_lNS_4expt15ForallParamPackIJEEES6_SA_TnNSt9enable_ifIXaasr3std10is_base_ofINS5_10DirectBaseET4_EE5valuegtsrT5_10block_sizeLi0EEmE4typeELm256EEEvT1_T0_T2_T3_
                                        ; -- End function
	.section	.AMDGPU.csdata,"",@progbits
; Kernel info:
; codeLenInByte = 144
; NumSgprs: 12
; NumVgprs: 6
; NumAgprs: 0
; TotalNumVgprs: 6
; ScratchSize: 0
; MemoryBound: 0
; FloatMode: 240
; IeeeMode: 1
; LDSByteSize: 0 bytes/workgroup (compile time only)
; SGPRBlocks: 1
; VGPRBlocks: 0
; NumSGPRsForWavesPerEU: 12
; NumVGPRsForWavesPerEU: 6
; AccumOffset: 8
; Occupancy: 8
; WaveLimiterHint : 0
; COMPUTE_PGM_RSRC2:SCRATCH_EN: 0
; COMPUTE_PGM_RSRC2:USER_SGPR: 6
; COMPUTE_PGM_RSRC2:TRAP_HANDLER: 0
; COMPUTE_PGM_RSRC2:TGID_X_EN: 1
; COMPUTE_PGM_RSRC2:TGID_Y_EN: 0
; COMPUTE_PGM_RSRC2:TGID_Z_EN: 0
; COMPUTE_PGM_RSRC2:TIDIG_COMP_CNT: 0
; COMPUTE_PGM_RSRC3_GFX90A:ACCUM_OFFSET: 1
; COMPUTE_PGM_RSRC3_GFX90A:TG_SPLIT: 0
	.text
	.p2alignl 6, 3212836864
	.fill 256, 4, 3212836864
	.type	__hip_cuid_cff786b482eb1352,@object ; @__hip_cuid_cff786b482eb1352
	.section	.bss,"aw",@nobits
	.globl	__hip_cuid_cff786b482eb1352
__hip_cuid_cff786b482eb1352:
	.byte	0                               ; 0x0
	.size	__hip_cuid_cff786b482eb1352, 1

	.ident	"AMD clang version 19.0.0git (https://github.com/RadeonOpenCompute/llvm-project roc-6.4.0 25133 c7fe45cf4b819c5991fe208aaa96edf142730f1d)"
	.section	".note.GNU-stack","",@progbits
	.addrsig
	.addrsig_sym __hip_cuid_cff786b482eb1352
	.amdgpu_metadata
---
amdhsa.kernels:
  - .agpr_count:     0
    .args:
      - .address_space:  global
        .offset:         0
        .size:           8
        .value_kind:     global_buffer
      - .offset:         8
        .size:           8
        .value_kind:     by_value
      - .offset:         16
        .size:           8
        .value_kind:     by_value
    .group_segment_fixed_size: 0
    .kernarg_segment_align: 8
    .kernarg_segment_size: 24
    .language:       OpenCL C
    .language_version:
      - 2
      - 0
    .max_flat_workgroup_size: 256
    .name:           _ZN8rajaperf5basic10initview1dILm256EEEvPddl
    .private_segment_fixed_size: 0
    .sgpr_count:     12
    .sgpr_spill_count: 0
    .symbol:         _ZN8rajaperf5basic10initview1dILm256EEEvPddl.kd
    .uniform_work_group_size: 1
    .uses_dynamic_stack: false
    .vgpr_count:     6
    .vgpr_spill_count: 0
    .wavefront_size: 64
  - .agpr_count:     0
    .args:
      - .offset:         0
        .size:           8
        .value_kind:     by_value
      - .offset:         8
        .size:           8
        .value_kind:     by_value
      - .offset:         16
        .size:           16
        .value_kind:     by_value
    .group_segment_fixed_size: 0
    .kernarg_segment_align: 8
    .kernarg_segment_size: 32
    .language:       OpenCL C
    .language_version:
      - 2
      - 0
    .max_flat_workgroup_size: 256
    .name:           _ZN8rajaperf17lambda_hip_forallILm256EZNS_5basic11INIT_VIEW1D17runHipVariantImplILm256EEEvNS_9VariantIDEEUllE_EEvllT0_
    .private_segment_fixed_size: 0
    .sgpr_count:     12
    .sgpr_spill_count: 0
    .symbol:         _ZN8rajaperf17lambda_hip_forallILm256EZNS_5basic11INIT_VIEW1D17runHipVariantImplILm256EEEvNS_9VariantIDEEUllE_EEvllT0_.kd
    .uniform_work_group_size: 1
    .uses_dynamic_stack: false
    .vgpr_count:     6
    .vgpr_spill_count: 0
    .wavefront_size: 64
  - .agpr_count:     0
    .args:
      - .offset:         0
        .size:           48
        .value_kind:     by_value
      - .offset:         48
        .size:           8
        .value_kind:     by_value
      - .offset:         56
        .size:           8
        .value_kind:     by_value
      - .offset:         64
        .size:           1
        .value_kind:     by_value
    .group_segment_fixed_size: 0
    .kernarg_segment_align: 8
    .kernarg_segment_size: 68
    .language:       OpenCL C
    .language_version:
      - 2
      - 0
    .max_flat_workgroup_size: 256
    .name:           _ZN4RAJA6policy3hip4impl18forallp_hip_kernelINS1_8hip_execINS_17iteration_mapping6DirectENS_3hip11IndexGlobalILNS_9named_dimE0ELi256ELi0EEENS7_40AvoidDeviceMaxThreadOccupancyConcretizerINS7_34FractionOffsetOccupancyConcretizerINS_8FractionImLm1ELm1EEELln1EEEEELb1EEENS_9Iterators16numeric_iteratorIllPlEEZN8rajaperf5basic11INIT_VIEW1D17runHipVariantImplILm256EEEvNSM_9VariantIDEEUllE0_lNS_4expt15ForallParamPackIJEEES6_SA_TnNSt9enable_ifIXaasr3std10is_base_ofINS5_10DirectBaseET4_EE5valuegtsrT5_10block_sizeLi0EEmE4typeELm256EEEvT1_T0_T2_T3_
    .private_segment_fixed_size: 0
    .sgpr_count:     12
    .sgpr_spill_count: 0
    .symbol:         _ZN4RAJA6policy3hip4impl18forallp_hip_kernelINS1_8hip_execINS_17iteration_mapping6DirectENS_3hip11IndexGlobalILNS_9named_dimE0ELi256ELi0EEENS7_40AvoidDeviceMaxThreadOccupancyConcretizerINS7_34FractionOffsetOccupancyConcretizerINS_8FractionImLm1ELm1EEELln1EEEEELb1EEENS_9Iterators16numeric_iteratorIllPlEEZN8rajaperf5basic11INIT_VIEW1D17runHipVariantImplILm256EEEvNSM_9VariantIDEEUllE0_lNS_4expt15ForallParamPackIJEEES6_SA_TnNSt9enable_ifIXaasr3std10is_base_ofINS5_10DirectBaseET4_EE5valuegtsrT5_10block_sizeLi0EEmE4typeELm256EEEvT1_T0_T2_T3_.kd
    .uniform_work_group_size: 1
    .uses_dynamic_stack: false
    .vgpr_count:     6
    .vgpr_spill_count: 0
    .wavefront_size: 64
amdhsa.target:   amdgcn-amd-amdhsa--gfx90a
amdhsa.version:
  - 1
  - 2
...

	.end_amdgpu_metadata
